;; amdgpu-corpus repo=ggml-org/llama.cpp kind=compiled arch=gfx1250 opt=O3
	.amdgcn_target "amdgcn-amd-amdhsa--gfx1250"
	.amdhsa_code_object_version 6
	.section	.text._ZL12snake_kernelIfEvPKT_PKfS4_PS0_i15HIP_vector_typeIjLj3EE,"axG",@progbits,_ZL12snake_kernelIfEvPKT_PKfS4_PS0_i15HIP_vector_typeIjLj3EE,comdat
	.globl	_ZL12snake_kernelIfEvPKT_PKfS4_PS0_i15HIP_vector_typeIjLj3EE ; -- Begin function _ZL12snake_kernelIfEvPKT_PKfS4_PS0_i15HIP_vector_typeIjLj3EE
	.p2align	8
	.type	_ZL12snake_kernelIfEvPKT_PKfS4_PS0_i15HIP_vector_typeIjLj3EE,@function
_ZL12snake_kernelIfEvPKT_PKfS4_PS0_i15HIP_vector_typeIjLj3EE: ; @_ZL12snake_kernelIfEvPKT_PKfS4_PS0_i15HIP_vector_typeIjLj3EE
; %bb.0:
	s_clause 0x1
	s_load_b32 s2, s[0:1], 0x3c
	s_load_b32 s3, s[0:1], 0x20
	s_bfe_u32 s4, ttmp6, 0x4000c
	s_and_b32 s5, ttmp6, 15
	s_add_co_i32 s4, s4, 1
	s_getreg_b32 s6, hwreg(HW_REG_IB_STS2, 6, 4)
	s_mul_i32 s4, ttmp9, s4
	s_delay_alu instid0(SALU_CYCLE_1) | instskip(SKIP_4) | instid1(SALU_CYCLE_1)
	s_add_co_i32 s5, s5, s4
	s_wait_kmcnt 0x0
	s_and_b32 s2, s2, 0xffff
	s_cmp_eq_u32 s6, 0
	s_cselect_b32 s4, ttmp9, s5
	v_mad_u32 v0, s4, s2, v0
	s_mov_b32 s2, exec_lo
	s_delay_alu instid0(VALU_DEP_1)
	v_cmpx_gt_i32_e64 s3, v0
	s_cbranch_execz .LBB0_6
; %bb.1:
	s_clause 0x1
	s_load_b64 s[2:3], s[0:1], 0x24
	s_load_b128 s[4:7], s[0:1], 0x0
                                        ; implicit-def: $vgpr8
                                        ; implicit-def: $vgpr7
	s_wait_kmcnt 0x0
	v_mul_hi_u32 v1, s2, v0
	s_delay_alu instid0(VALU_DEP_1) | instskip(NEXT) | instid1(VALU_DEP_1)
	v_add_nc_u32_e32 v1, v0, v1
	v_lshrrev_b32_e32 v2, s3, v1
	s_mov_b32 s3, exec_lo
	global_load_b32 v4, v0, s[4:5] scale_offset
	global_load_b32 v1, v2, s[6:7] scale_offset
	s_wait_loadcnt 0x0
	v_dual_mul_f32 v5, v4, v1 :: v_dual_ashrrev_i32 v1, 31, v0
	v_ashrrev_i32_e32 v3, 31, v2
	s_delay_alu instid0(VALU_DEP_2)
	v_and_b32_e32 v6, 0x7fffffff, v5
	v_cmpx_ngt_f32_e64 0x48000000, |v5|
	s_xor_b32 s4, exec_lo, s3
	s_cbranch_execz .LBB0_3
; %bb.2:
	s_mov_b32 s2, 0x7fffff
	v_mov_b32_e32 v9, 0
	v_and_or_b32 v8, v6, s2, 0x800000
	s_mov_b64 s[2:3], 0xfe5163ab
	v_lshrrev_b32_e32 v7, 23, v6
	s_delay_alu instid0(VALU_DEP_2) | instskip(NEXT) | instid1(VALU_DEP_1)
	v_mul_u64_e32 v[10:11], s[2:3], v[8:9]
	v_dual_mov_b32 v12, v11 :: v_dual_mov_b32 v13, v9
	v_dual_mov_b32 v15, v9 :: v_dual_mov_b32 v17, v9
	v_dual_mov_b32 v19, v9 :: v_dual_mov_b32 v23, v9
	s_delay_alu instid0(VALU_DEP_3) | instskip(NEXT) | instid1(VALU_DEP_1)
	v_mad_nc_u64_u32 v[12:13], 0x3c439041, v8, v[12:13]
	v_mov_b32_e32 v14, v13
	s_delay_alu instid0(VALU_DEP_1) | instskip(NEXT) | instid1(VALU_DEP_1)
	v_mad_nc_u64_u32 v[14:15], 0xdb629599, v8, v[14:15]
	v_mov_b32_e32 v16, v15
	s_delay_alu instid0(VALU_DEP_1) | instskip(NEXT) | instid1(VALU_DEP_1)
	;; [unrolled: 3-line block ×3, first 2 shown]
	v_mad_nc_u64_u32 v[18:19], 0xfc2757d1, v8, v[18:19]
	v_dual_mov_b32 v21, v9 :: v_dual_mov_b32 v20, v19
	s_delay_alu instid0(VALU_DEP_1) | instskip(NEXT) | instid1(VALU_DEP_1)
	v_mad_nc_u64_u32 v[20:21], 0x4e441529, v8, v[20:21]
	v_dual_mov_b32 v22, v21 :: v_dual_add_nc_u32 v7, 0xffffff88, v7
	s_delay_alu instid0(VALU_DEP_1) | instskip(NEXT) | instid1(VALU_DEP_2)
	v_cmp_lt_u32_e32 vcc_lo, 63, v7
	v_mad_nc_u64_u32 v[8:9], 0xa2f9836e, v8, v[22:23]
	v_cndmask_b32_e64 v11, 0, 0xffffffc0, vcc_lo
	v_dual_cndmask_b32 v13, v20, v16 :: v_dual_cndmask_b32 v10, v14, v10
	s_delay_alu instid0(VALU_DEP_2) | instskip(NEXT) | instid1(VALU_DEP_1)
	v_add_nc_u32_e32 v7, v11, v7
	v_cmp_lt_u32_e64 s2, 31, v7
	v_dual_cndmask_b32 v8, v8, v18 :: v_dual_cndmask_b32 v9, v9, v20
	s_delay_alu instid0(VALU_DEP_2) | instskip(NEXT) | instid1(VALU_DEP_1)
	v_cndmask_b32_e64 v11, 0, 0xffffffe0, s2
	v_add_nc_u32_e32 v7, v11, v7
	s_delay_alu instid0(VALU_DEP_1) | instskip(NEXT) | instid1(VALU_DEP_1)
	v_cmp_lt_u32_e64 s3, 31, v7
	v_cndmask_b32_e64 v11, 0, 0xffffffe0, s3
	s_delay_alu instid0(VALU_DEP_1) | instskip(SKIP_2) | instid1(VALU_DEP_3)
	v_dual_cndmask_b32 v15, v18, v14, vcc_lo :: v_dual_add_nc_u32 v7, v11, v7
	v_cndmask_b32_e32 v11, v16, v12, vcc_lo
	v_dual_cndmask_b32 v12, v8, v13, s2 :: v_dual_cndmask_b32 v8, v9, v8, s2
	v_cndmask_b32_e64 v9, v13, v15, s2
	s_delay_alu instid0(VALU_DEP_4) | instskip(NEXT) | instid1(VALU_DEP_4)
	v_sub_nc_u32_e32 v13, 32, v7
	v_cndmask_b32_e64 v15, v15, v11, s2
	v_cmp_eq_u32_e32 vcc_lo, 0, v7
	v_cndmask_b32_e64 v8, v8, v12, s3
	s_delay_alu instid0(VALU_DEP_3) | instskip(NEXT) | instid1(VALU_DEP_1)
	v_dual_cndmask_b32 v12, v12, v9, s3 :: v_dual_cndmask_b32 v9, v9, v15, s3
	v_alignbit_b32 v16, v8, v12, v13
	s_delay_alu instid0(VALU_DEP_2) | instskip(NEXT) | instid1(VALU_DEP_2)
	v_alignbit_b32 v14, v12, v9, v13
	v_dual_cndmask_b32 v7, v16, v8, vcc_lo :: v_dual_cndmask_b32 v8, v11, v10, s2
	s_delay_alu instid0(VALU_DEP_1) | instskip(NEXT) | instid1(VALU_DEP_1)
	v_bfe_u32 v11, v7, 29, 1
	v_dual_cndmask_b32 v10, v14, v12, vcc_lo :: v_dual_sub_nc_u32 v14, 0, v11
	s_delay_alu instid0(VALU_DEP_1) | instskip(NEXT) | instid1(VALU_DEP_1)
	v_alignbit_b32 v12, v7, v10, 30
	v_dual_cndmask_b32 v8, v15, v8, s3 :: v_dual_bitop2_b32 v12, v12, v14 bitop3:0x14
	s_delay_alu instid0(VALU_DEP_1) | instskip(NEXT) | instid1(VALU_DEP_1)
	v_alignbit_b32 v13, v9, v8, v13
	v_cndmask_b32_e32 v9, v13, v9, vcc_lo
	s_delay_alu instid0(VALU_DEP_3) | instskip(NEXT) | instid1(VALU_DEP_2)
	v_clz_i32_u32_e32 v13, v12
	v_alignbit_b32 v8, v9, v8, 30
	s_delay_alu instid0(VALU_DEP_2) | instskip(NEXT) | instid1(VALU_DEP_2)
	v_min_u32_e32 v13, 32, v13
	v_xor_b32_e32 v8, v8, v14
	v_alignbit_b32 v10, v10, v9, 30
	s_delay_alu instid0(VALU_DEP_1) | instskip(SKIP_1) | instid1(VALU_DEP_1)
	v_dual_lshlrev_b32 v15, 23, v13 :: v_dual_bitop2_b32 v9, v10, v14 bitop3:0x14
	v_dual_sub_nc_u32 v10, 31, v13 :: v_dual_lshrrev_b32 v14, 29, v7
	v_alignbit_b32 v12, v12, v9, v10
	v_alignbit_b32 v8, v9, v8, v10
	s_delay_alu instid0(VALU_DEP_3) | instskip(NEXT) | instid1(VALU_DEP_2)
	v_lshlrev_b32_e32 v9, 31, v14
	v_alignbit_b32 v10, v12, v8, 9
	s_delay_alu instid0(VALU_DEP_2) | instskip(NEXT) | instid1(VALU_DEP_2)
	v_dual_lshrrev_b32 v12, 9, v12 :: v_dual_bitop2_b32 v14, 0.5, v9 bitop3:0x54
	v_clz_i32_u32_e32 v16, v10
	s_delay_alu instid0(VALU_DEP_2) | instskip(SKIP_1) | instid1(VALU_DEP_3)
	v_sub_nc_u32_e32 v14, v14, v15
	v_or_b32_e32 v9, 0x33000000, v9
	v_min_u32_e32 v15, 32, v16
	s_delay_alu instid0(VALU_DEP_1) | instskip(NEXT) | instid1(VALU_DEP_4)
	v_add_lshl_u32 v13, v15, v13, 23
	v_or_b32_e32 v12, v12, v14
	v_not_b32_e32 v14, v15
	s_delay_alu instid0(VALU_DEP_2) | instskip(NEXT) | instid1(VALU_DEP_2)
	v_dual_mul_f32 v16, 0x3fc90fda, v12 :: v_dual_sub_nc_u32 v9, v9, v13
	v_alignbit_b32 v8, v10, v8, v14
	s_delay_alu instid0(VALU_DEP_2) | instskip(NEXT) | instid1(VALU_DEP_2)
	v_fma_f32 v10, 0x3fc90fda, v12, -v16
	v_lshrrev_b32_e32 v8, 9, v8
	s_delay_alu instid0(VALU_DEP_2) | instskip(NEXT) | instid1(VALU_DEP_2)
	v_fmamk_f32 v10, v12, 0x33a22168, v10
	v_or_b32_e32 v8, v9, v8
	s_delay_alu instid0(VALU_DEP_1) | instskip(NEXT) | instid1(VALU_DEP_1)
	v_fmac_f32_e32 v10, 0x3fc90fda, v8
	v_dual_add_f32 v7, v16, v10 :: v_dual_lshrrev_b32 v8, 30, v7
	s_delay_alu instid0(VALU_DEP_1)
	v_add_nc_u32_e32 v8, v11, v8
.LBB0_3:
	s_or_saveexec_b32 s4, s4
	s_load_b128 s[0:3], s[0:1], 0x10
	s_xor_b32 exec_lo, exec_lo, s4
; %bb.4:
	v_mul_f32_e64 v7, 0x3f22f983, |v5|
	s_delay_alu instid0(VALU_DEP_1) | instskip(NEXT) | instid1(VALU_DEP_1)
	v_rndne_f32_e32 v8, v7
	v_fma_f32 v7, 0xbfc90fda, v8, |v5|
	s_delay_alu instid0(VALU_DEP_1) | instskip(NEXT) | instid1(VALU_DEP_1)
	v_fmamk_f32 v7, v8, 0xb3a22168, v7
	v_fmamk_f32 v7, v8, 0xa7c234c4, v7
	v_cvt_i32_f32_e32 v8, v8
; %bb.5:
	s_or_b32 exec_lo, exec_lo, s4
	s_wait_kmcnt 0x0
	v_lshl_add_u64 v[2:3], v[2:3], 2, s[0:1]
	s_mov_b32 s0, 0xb94c1982
	s_mov_b32 s1, 0x37d75334
	v_xor_b32_e32 v6, v6, v5
	v_lshl_add_u64 v[0:1], v[0:1], 2, s[2:3]
	global_load_b32 v2, v[2:3], off
	s_wait_xcnt 0x0
	v_dual_mul_f32 v3, v7, v7 :: v_dual_bitop2_b32 v11, 1, v8 bitop3:0x40
	s_delay_alu instid0(VALU_DEP_1) | instskip(NEXT) | instid1(VALU_DEP_2)
	v_dual_fmaak_f32 v9, s0, v3, 0x3c0881c4 :: v_dual_lshlrev_b32 v8, 30, v8
	v_cmp_eq_u32_e32 vcc_lo, 0, v11
	s_delay_alu instid0(VALU_DEP_2) | instskip(NEXT) | instid1(VALU_DEP_3)
	v_and_b32_e32 v8, 0x80000000, v8
	v_fmaak_f32 v9, v3, v9, 0xbe2aaa9d
	s_delay_alu instid0(VALU_DEP_1) | instskip(NEXT) | instid1(VALU_DEP_1)
	v_dual_fmaak_f32 v10, s1, v3, 0xbab64f3b :: v_dual_mul_f32 v9, v3, v9
	v_fmac_f32_e32 v7, v7, v9
	s_delay_alu instid0(VALU_DEP_2) | instskip(NEXT) | instid1(VALU_DEP_1)
	v_fmaak_f32 v10, v3, v10, 0x3d2aabf7
	v_fmaak_f32 v10, v3, v10, 0xbf000004
	s_delay_alu instid0(VALU_DEP_1) | instskip(NEXT) | instid1(VALU_DEP_1)
	v_fma_f32 v3, v3, v10, 1.0
	v_cndmask_b32_e32 v3, v3, v7, vcc_lo
	v_cmp_class_f32_e64 vcc_lo, v5, 0x1f8
	s_delay_alu instid0(VALU_DEP_2) | instskip(NEXT) | instid1(VALU_DEP_1)
	v_xor3_b32 v3, v6, v8, v3
	v_cndmask_b32_e32 v3, 0x7fc00000, v3, vcc_lo
	s_delay_alu instid0(VALU_DEP_1) | instskip(SKIP_1) | instid1(VALU_DEP_1)
	v_mul_f32_e32 v3, v3, v3
	s_wait_loadcnt 0x0
	v_fmac_f32_e32 v4, v2, v3
	global_store_b32 v[0:1], v4, off
.LBB0_6:
	s_endpgm
	.section	.rodata,"a",@progbits
	.p2align	6, 0x0
	.amdhsa_kernel _ZL12snake_kernelIfEvPKT_PKfS4_PS0_i15HIP_vector_typeIjLj3EE
		.amdhsa_group_segment_fixed_size 0
		.amdhsa_private_segment_fixed_size 0
		.amdhsa_kernarg_size 304
		.amdhsa_user_sgpr_count 2
		.amdhsa_user_sgpr_dispatch_ptr 0
		.amdhsa_user_sgpr_queue_ptr 0
		.amdhsa_user_sgpr_kernarg_segment_ptr 1
		.amdhsa_user_sgpr_dispatch_id 0
		.amdhsa_user_sgpr_kernarg_preload_length 0
		.amdhsa_user_sgpr_kernarg_preload_offset 0
		.amdhsa_user_sgpr_private_segment_size 0
		.amdhsa_wavefront_size32 1
		.amdhsa_uses_dynamic_stack 0
		.amdhsa_enable_private_segment 0
		.amdhsa_system_sgpr_workgroup_id_x 1
		.amdhsa_system_sgpr_workgroup_id_y 0
		.amdhsa_system_sgpr_workgroup_id_z 0
		.amdhsa_system_sgpr_workgroup_info 0
		.amdhsa_system_vgpr_workitem_id 0
		.amdhsa_next_free_vgpr 24
		.amdhsa_next_free_sgpr 8
		.amdhsa_named_barrier_count 0
		.amdhsa_reserve_vcc 1
		.amdhsa_float_round_mode_32 0
		.amdhsa_float_round_mode_16_64 0
		.amdhsa_float_denorm_mode_32 3
		.amdhsa_float_denorm_mode_16_64 3
		.amdhsa_fp16_overflow 0
		.amdhsa_memory_ordered 1
		.amdhsa_forward_progress 1
		.amdhsa_inst_pref_size 10
		.amdhsa_round_robin_scheduling 0
		.amdhsa_exception_fp_ieee_invalid_op 0
		.amdhsa_exception_fp_denorm_src 0
		.amdhsa_exception_fp_ieee_div_zero 0
		.amdhsa_exception_fp_ieee_overflow 0
		.amdhsa_exception_fp_ieee_underflow 0
		.amdhsa_exception_fp_ieee_inexact 0
		.amdhsa_exception_int_div_zero 0
	.end_amdhsa_kernel
	.section	.text._ZL12snake_kernelIfEvPKT_PKfS4_PS0_i15HIP_vector_typeIjLj3EE,"axG",@progbits,_ZL12snake_kernelIfEvPKT_PKfS4_PS0_i15HIP_vector_typeIjLj3EE,comdat
.Lfunc_end0:
	.size	_ZL12snake_kernelIfEvPKT_PKfS4_PS0_i15HIP_vector_typeIjLj3EE, .Lfunc_end0-_ZL12snake_kernelIfEvPKT_PKfS4_PS0_i15HIP_vector_typeIjLj3EE
                                        ; -- End function
	.set _ZL12snake_kernelIfEvPKT_PKfS4_PS0_i15HIP_vector_typeIjLj3EE.num_vgpr, 24
	.set _ZL12snake_kernelIfEvPKT_PKfS4_PS0_i15HIP_vector_typeIjLj3EE.num_agpr, 0
	.set _ZL12snake_kernelIfEvPKT_PKfS4_PS0_i15HIP_vector_typeIjLj3EE.numbered_sgpr, 8
	.set _ZL12snake_kernelIfEvPKT_PKfS4_PS0_i15HIP_vector_typeIjLj3EE.num_named_barrier, 0
	.set _ZL12snake_kernelIfEvPKT_PKfS4_PS0_i15HIP_vector_typeIjLj3EE.private_seg_size, 0
	.set _ZL12snake_kernelIfEvPKT_PKfS4_PS0_i15HIP_vector_typeIjLj3EE.uses_vcc, 1
	.set _ZL12snake_kernelIfEvPKT_PKfS4_PS0_i15HIP_vector_typeIjLj3EE.uses_flat_scratch, 0
	.set _ZL12snake_kernelIfEvPKT_PKfS4_PS0_i15HIP_vector_typeIjLj3EE.has_dyn_sized_stack, 0
	.set _ZL12snake_kernelIfEvPKT_PKfS4_PS0_i15HIP_vector_typeIjLj3EE.has_recursion, 0
	.set _ZL12snake_kernelIfEvPKT_PKfS4_PS0_i15HIP_vector_typeIjLj3EE.has_indirect_call, 0
	.section	.AMDGPU.csdata,"",@progbits
; Kernel info:
; codeLenInByte = 1248
; TotalNumSgprs: 10
; NumVgprs: 24
; ScratchSize: 0
; MemoryBound: 0
; FloatMode: 240
; IeeeMode: 1
; LDSByteSize: 0 bytes/workgroup (compile time only)
; SGPRBlocks: 0
; VGPRBlocks: 1
; NumSGPRsForWavesPerEU: 10
; NumVGPRsForWavesPerEU: 24
; NamedBarCnt: 0
; Occupancy: 16
; WaveLimiterHint : 0
; COMPUTE_PGM_RSRC2:SCRATCH_EN: 0
; COMPUTE_PGM_RSRC2:USER_SGPR: 2
; COMPUTE_PGM_RSRC2:TRAP_HANDLER: 0
; COMPUTE_PGM_RSRC2:TGID_X_EN: 1
; COMPUTE_PGM_RSRC2:TGID_Y_EN: 0
; COMPUTE_PGM_RSRC2:TGID_Z_EN: 0
; COMPUTE_PGM_RSRC2:TIDIG_COMP_CNT: 0
	.section	.text._ZL12snake_kernelI6__halfEvPKT_PKfS5_PS1_i15HIP_vector_typeIjLj3EE,"axG",@progbits,_ZL12snake_kernelI6__halfEvPKT_PKfS5_PS1_i15HIP_vector_typeIjLj3EE,comdat
	.globl	_ZL12snake_kernelI6__halfEvPKT_PKfS5_PS1_i15HIP_vector_typeIjLj3EE ; -- Begin function _ZL12snake_kernelI6__halfEvPKT_PKfS5_PS1_i15HIP_vector_typeIjLj3EE
	.p2align	8
	.type	_ZL12snake_kernelI6__halfEvPKT_PKfS5_PS1_i15HIP_vector_typeIjLj3EE,@function
_ZL12snake_kernelI6__halfEvPKT_PKfS5_PS1_i15HIP_vector_typeIjLj3EE: ; @_ZL12snake_kernelI6__halfEvPKT_PKfS5_PS1_i15HIP_vector_typeIjLj3EE
; %bb.0:
	s_clause 0x1
	s_load_b32 s2, s[0:1], 0x3c
	s_load_b32 s3, s[0:1], 0x20
	s_bfe_u32 s4, ttmp6, 0x4000c
	s_and_b32 s5, ttmp6, 15
	s_add_co_i32 s4, s4, 1
	s_getreg_b32 s6, hwreg(HW_REG_IB_STS2, 6, 4)
	s_mul_i32 s4, ttmp9, s4
	s_delay_alu instid0(SALU_CYCLE_1) | instskip(SKIP_4) | instid1(SALU_CYCLE_1)
	s_add_co_i32 s5, s5, s4
	s_wait_kmcnt 0x0
	s_and_b32 s2, s2, 0xffff
	s_cmp_eq_u32 s6, 0
	s_cselect_b32 s4, ttmp9, s5
	v_mad_u32 v0, s4, s2, v0
	s_mov_b32 s2, exec_lo
	s_delay_alu instid0(VALU_DEP_1)
	v_cmpx_gt_i32_e64 s3, v0
	s_cbranch_execz .LBB1_6
; %bb.1:
	s_clause 0x1
	s_load_b64 s[2:3], s[0:1], 0x24
	s_load_b128 s[4:7], s[0:1], 0x0
                                        ; implicit-def: $vgpr8
                                        ; implicit-def: $vgpr7
	s_wait_kmcnt 0x0
	v_mul_hi_u32 v1, s2, v0
	global_load_u16 v3, v0, s[4:5] scale_offset
	v_add_nc_u32_e32 v1, v0, v1
	s_wait_loadcnt 0x0
	v_cvt_f32_f16_e32 v4, v3
	s_delay_alu instid0(VALU_DEP_2)
	v_lshrrev_b32_e32 v2, s3, v1
	s_mov_b32 s3, exec_lo
	global_load_b32 v1, v2, s[6:7] scale_offset
	s_wait_loadcnt 0x0
	v_mul_f32_e32 v5, v1, v4
	v_dual_ashrrev_i32 v1, 31, v0 :: v_dual_ashrrev_i32 v3, 31, v2
	s_delay_alu instid0(VALU_DEP_2)
	v_and_b32_e32 v6, 0x7fffffff, v5
	v_cmpx_ngt_f32_e64 0x48000000, |v5|
	s_xor_b32 s4, exec_lo, s3
	s_cbranch_execz .LBB1_3
; %bb.2:
	s_mov_b32 s2, 0x7fffff
	v_mov_b32_e32 v9, 0
	v_and_or_b32 v8, v6, s2, 0x800000
	s_mov_b64 s[2:3], 0xfe5163ab
	v_lshrrev_b32_e32 v7, 23, v6
	s_delay_alu instid0(VALU_DEP_2) | instskip(NEXT) | instid1(VALU_DEP_1)
	v_mul_u64_e32 v[10:11], s[2:3], v[8:9]
	v_dual_mov_b32 v12, v11 :: v_dual_mov_b32 v13, v9
	v_dual_mov_b32 v15, v9 :: v_dual_mov_b32 v17, v9
	;; [unrolled: 1-line block ×3, first 2 shown]
	s_delay_alu instid0(VALU_DEP_3) | instskip(NEXT) | instid1(VALU_DEP_1)
	v_mad_nc_u64_u32 v[12:13], 0x3c439041, v8, v[12:13]
	v_mov_b32_e32 v14, v13
	s_delay_alu instid0(VALU_DEP_1) | instskip(NEXT) | instid1(VALU_DEP_1)
	v_mad_nc_u64_u32 v[14:15], 0xdb629599, v8, v[14:15]
	v_mov_b32_e32 v16, v15
	s_delay_alu instid0(VALU_DEP_1) | instskip(NEXT) | instid1(VALU_DEP_1)
	v_mad_nc_u64_u32 v[16:17], 0xf534ddc0, v8, v[16:17]
	v_mov_b32_e32 v18, v17
	s_delay_alu instid0(VALU_DEP_1) | instskip(NEXT) | instid1(VALU_DEP_1)
	v_mad_nc_u64_u32 v[18:19], 0xfc2757d1, v8, v[18:19]
	v_dual_mov_b32 v21, v9 :: v_dual_mov_b32 v20, v19
	s_delay_alu instid0(VALU_DEP_1) | instskip(NEXT) | instid1(VALU_DEP_1)
	v_mad_nc_u64_u32 v[20:21], 0x4e441529, v8, v[20:21]
	v_dual_mov_b32 v22, v21 :: v_dual_add_nc_u32 v7, 0xffffff88, v7
	s_delay_alu instid0(VALU_DEP_1) | instskip(NEXT) | instid1(VALU_DEP_2)
	v_cmp_lt_u32_e32 vcc_lo, 63, v7
	v_mad_nc_u64_u32 v[8:9], 0xa2f9836e, v8, v[22:23]
	v_cndmask_b32_e64 v11, 0, 0xffffffc0, vcc_lo
	v_dual_cndmask_b32 v13, v20, v16 :: v_dual_cndmask_b32 v10, v14, v10
	s_delay_alu instid0(VALU_DEP_2) | instskip(NEXT) | instid1(VALU_DEP_1)
	v_add_nc_u32_e32 v7, v11, v7
	v_cmp_lt_u32_e64 s2, 31, v7
	v_dual_cndmask_b32 v8, v8, v18 :: v_dual_cndmask_b32 v9, v9, v20
	s_delay_alu instid0(VALU_DEP_2) | instskip(NEXT) | instid1(VALU_DEP_1)
	v_cndmask_b32_e64 v11, 0, 0xffffffe0, s2
	v_add_nc_u32_e32 v7, v11, v7
	s_delay_alu instid0(VALU_DEP_1) | instskip(NEXT) | instid1(VALU_DEP_1)
	v_cmp_lt_u32_e64 s3, 31, v7
	v_cndmask_b32_e64 v11, 0, 0xffffffe0, s3
	s_delay_alu instid0(VALU_DEP_1) | instskip(SKIP_2) | instid1(VALU_DEP_3)
	v_dual_cndmask_b32 v15, v18, v14, vcc_lo :: v_dual_add_nc_u32 v7, v11, v7
	v_cndmask_b32_e32 v11, v16, v12, vcc_lo
	v_dual_cndmask_b32 v12, v8, v13, s2 :: v_dual_cndmask_b32 v8, v9, v8, s2
	v_cndmask_b32_e64 v9, v13, v15, s2
	s_delay_alu instid0(VALU_DEP_4) | instskip(NEXT) | instid1(VALU_DEP_4)
	v_sub_nc_u32_e32 v13, 32, v7
	v_cndmask_b32_e64 v15, v15, v11, s2
	v_cmp_eq_u32_e32 vcc_lo, 0, v7
	v_cndmask_b32_e64 v8, v8, v12, s3
	s_delay_alu instid0(VALU_DEP_3) | instskip(NEXT) | instid1(VALU_DEP_1)
	v_dual_cndmask_b32 v12, v12, v9, s3 :: v_dual_cndmask_b32 v9, v9, v15, s3
	v_alignbit_b32 v16, v8, v12, v13
	s_delay_alu instid0(VALU_DEP_2) | instskip(NEXT) | instid1(VALU_DEP_2)
	v_alignbit_b32 v14, v12, v9, v13
	v_dual_cndmask_b32 v7, v16, v8, vcc_lo :: v_dual_cndmask_b32 v8, v11, v10, s2
	s_delay_alu instid0(VALU_DEP_1) | instskip(NEXT) | instid1(VALU_DEP_1)
	v_bfe_u32 v11, v7, 29, 1
	v_dual_cndmask_b32 v10, v14, v12, vcc_lo :: v_dual_sub_nc_u32 v14, 0, v11
	s_delay_alu instid0(VALU_DEP_1) | instskip(NEXT) | instid1(VALU_DEP_1)
	v_alignbit_b32 v12, v7, v10, 30
	v_dual_cndmask_b32 v8, v15, v8, s3 :: v_dual_bitop2_b32 v12, v12, v14 bitop3:0x14
	s_delay_alu instid0(VALU_DEP_1) | instskip(NEXT) | instid1(VALU_DEP_1)
	v_alignbit_b32 v13, v9, v8, v13
	v_cndmask_b32_e32 v9, v13, v9, vcc_lo
	s_delay_alu instid0(VALU_DEP_3) | instskip(NEXT) | instid1(VALU_DEP_2)
	v_clz_i32_u32_e32 v13, v12
	v_alignbit_b32 v8, v9, v8, 30
	s_delay_alu instid0(VALU_DEP_2) | instskip(NEXT) | instid1(VALU_DEP_2)
	v_min_u32_e32 v13, 32, v13
	v_xor_b32_e32 v8, v8, v14
	v_alignbit_b32 v10, v10, v9, 30
	s_delay_alu instid0(VALU_DEP_1) | instskip(SKIP_1) | instid1(VALU_DEP_1)
	v_dual_lshlrev_b32 v15, 23, v13 :: v_dual_bitop2_b32 v9, v10, v14 bitop3:0x14
	v_dual_sub_nc_u32 v10, 31, v13 :: v_dual_lshrrev_b32 v14, 29, v7
	v_alignbit_b32 v12, v12, v9, v10
	v_alignbit_b32 v8, v9, v8, v10
	s_delay_alu instid0(VALU_DEP_3) | instskip(NEXT) | instid1(VALU_DEP_2)
	v_lshlrev_b32_e32 v9, 31, v14
	v_alignbit_b32 v10, v12, v8, 9
	s_delay_alu instid0(VALU_DEP_2) | instskip(NEXT) | instid1(VALU_DEP_2)
	v_dual_lshrrev_b32 v12, 9, v12 :: v_dual_bitop2_b32 v14, 0.5, v9 bitop3:0x54
	v_clz_i32_u32_e32 v16, v10
	s_delay_alu instid0(VALU_DEP_2) | instskip(SKIP_1) | instid1(VALU_DEP_3)
	v_sub_nc_u32_e32 v14, v14, v15
	v_or_b32_e32 v9, 0x33000000, v9
	v_min_u32_e32 v15, 32, v16
	s_delay_alu instid0(VALU_DEP_1) | instskip(NEXT) | instid1(VALU_DEP_4)
	v_add_lshl_u32 v13, v15, v13, 23
	v_or_b32_e32 v12, v12, v14
	v_not_b32_e32 v14, v15
	s_delay_alu instid0(VALU_DEP_2) | instskip(NEXT) | instid1(VALU_DEP_2)
	v_dual_mul_f32 v16, 0x3fc90fda, v12 :: v_dual_sub_nc_u32 v9, v9, v13
	v_alignbit_b32 v8, v10, v8, v14
	s_delay_alu instid0(VALU_DEP_2) | instskip(NEXT) | instid1(VALU_DEP_2)
	v_fma_f32 v10, 0x3fc90fda, v12, -v16
	v_lshrrev_b32_e32 v8, 9, v8
	s_delay_alu instid0(VALU_DEP_2) | instskip(NEXT) | instid1(VALU_DEP_2)
	v_fmamk_f32 v10, v12, 0x33a22168, v10
	v_or_b32_e32 v8, v9, v8
	s_delay_alu instid0(VALU_DEP_1) | instskip(NEXT) | instid1(VALU_DEP_1)
	v_fmac_f32_e32 v10, 0x3fc90fda, v8
	v_dual_add_f32 v7, v16, v10 :: v_dual_lshrrev_b32 v8, 30, v7
	s_delay_alu instid0(VALU_DEP_1)
	v_add_nc_u32_e32 v8, v11, v8
.LBB1_3:
	s_or_saveexec_b32 s4, s4
	s_load_b128 s[0:3], s[0:1], 0x10
	s_xor_b32 exec_lo, exec_lo, s4
; %bb.4:
	v_mul_f32_e64 v7, 0x3f22f983, |v5|
	s_delay_alu instid0(VALU_DEP_1) | instskip(NEXT) | instid1(VALU_DEP_1)
	v_rndne_f32_e32 v8, v7
	v_fma_f32 v7, 0xbfc90fda, v8, |v5|
	s_delay_alu instid0(VALU_DEP_1) | instskip(NEXT) | instid1(VALU_DEP_1)
	v_fmamk_f32 v7, v8, 0xb3a22168, v7
	v_fmamk_f32 v7, v8, 0xa7c234c4, v7
	v_cvt_i32_f32_e32 v8, v8
; %bb.5:
	s_or_b32 exec_lo, exec_lo, s4
	s_wait_kmcnt 0x0
	v_lshl_add_u64 v[2:3], v[2:3], 2, s[0:1]
	s_mov_b32 s0, 0xb94c1982
	s_mov_b32 s1, 0x37d75334
	v_xor_b32_e32 v6, v6, v5
	v_lshl_add_u64 v[0:1], v[0:1], 1, s[2:3]
	global_load_b32 v2, v[2:3], off
	s_wait_xcnt 0x0
	v_dual_mul_f32 v3, v7, v7 :: v_dual_bitop2_b32 v11, 1, v8 bitop3:0x40
	s_delay_alu instid0(VALU_DEP_1) | instskip(NEXT) | instid1(VALU_DEP_2)
	v_dual_fmaak_f32 v9, s0, v3, 0x3c0881c4 :: v_dual_lshlrev_b32 v8, 30, v8
	v_cmp_eq_u32_e32 vcc_lo, 0, v11
	s_delay_alu instid0(VALU_DEP_2) | instskip(NEXT) | instid1(VALU_DEP_3)
	v_and_b32_e32 v8, 0x80000000, v8
	v_fmaak_f32 v9, v3, v9, 0xbe2aaa9d
	s_delay_alu instid0(VALU_DEP_1) | instskip(NEXT) | instid1(VALU_DEP_1)
	v_dual_fmaak_f32 v10, s1, v3, 0xbab64f3b :: v_dual_mul_f32 v9, v3, v9
	v_fmac_f32_e32 v7, v7, v9
	s_delay_alu instid0(VALU_DEP_2) | instskip(NEXT) | instid1(VALU_DEP_1)
	v_fmaak_f32 v10, v3, v10, 0x3d2aabf7
	v_fmaak_f32 v10, v3, v10, 0xbf000004
	s_delay_alu instid0(VALU_DEP_1) | instskip(NEXT) | instid1(VALU_DEP_1)
	v_fma_f32 v3, v3, v10, 1.0
	v_cndmask_b32_e32 v3, v3, v7, vcc_lo
	v_cmp_class_f32_e64 vcc_lo, v5, 0x1f8
	s_delay_alu instid0(VALU_DEP_2) | instskip(NEXT) | instid1(VALU_DEP_1)
	v_xor3_b32 v3, v6, v8, v3
	v_cndmask_b32_e32 v3, 0x7fc00000, v3, vcc_lo
	s_delay_alu instid0(VALU_DEP_1) | instskip(SKIP_1) | instid1(VALU_DEP_1)
	v_mul_f32_e32 v3, v3, v3
	s_wait_loadcnt 0x0
	v_fma_mixlo_f16 v2, v2, v3, v4
	global_store_b16 v[0:1], v2, off
.LBB1_6:
	s_endpgm
	.section	.rodata,"a",@progbits
	.p2align	6, 0x0
	.amdhsa_kernel _ZL12snake_kernelI6__halfEvPKT_PKfS5_PS1_i15HIP_vector_typeIjLj3EE
		.amdhsa_group_segment_fixed_size 0
		.amdhsa_private_segment_fixed_size 0
		.amdhsa_kernarg_size 304
		.amdhsa_user_sgpr_count 2
		.amdhsa_user_sgpr_dispatch_ptr 0
		.amdhsa_user_sgpr_queue_ptr 0
		.amdhsa_user_sgpr_kernarg_segment_ptr 1
		.amdhsa_user_sgpr_dispatch_id 0
		.amdhsa_user_sgpr_kernarg_preload_length 0
		.amdhsa_user_sgpr_kernarg_preload_offset 0
		.amdhsa_user_sgpr_private_segment_size 0
		.amdhsa_wavefront_size32 1
		.amdhsa_uses_dynamic_stack 0
		.amdhsa_enable_private_segment 0
		.amdhsa_system_sgpr_workgroup_id_x 1
		.amdhsa_system_sgpr_workgroup_id_y 0
		.amdhsa_system_sgpr_workgroup_id_z 0
		.amdhsa_system_sgpr_workgroup_info 0
		.amdhsa_system_vgpr_workitem_id 0
		.amdhsa_next_free_vgpr 24
		.amdhsa_next_free_sgpr 8
		.amdhsa_named_barrier_count 0
		.amdhsa_reserve_vcc 1
		.amdhsa_float_round_mode_32 0
		.amdhsa_float_round_mode_16_64 0
		.amdhsa_float_denorm_mode_32 3
		.amdhsa_float_denorm_mode_16_64 3
		.amdhsa_fp16_overflow 0
		.amdhsa_memory_ordered 1
		.amdhsa_forward_progress 1
		.amdhsa_inst_pref_size 10
		.amdhsa_round_robin_scheduling 0
		.amdhsa_exception_fp_ieee_invalid_op 0
		.amdhsa_exception_fp_denorm_src 0
		.amdhsa_exception_fp_ieee_div_zero 0
		.amdhsa_exception_fp_ieee_overflow 0
		.amdhsa_exception_fp_ieee_underflow 0
		.amdhsa_exception_fp_ieee_inexact 0
		.amdhsa_exception_int_div_zero 0
	.end_amdhsa_kernel
	.section	.text._ZL12snake_kernelI6__halfEvPKT_PKfS5_PS1_i15HIP_vector_typeIjLj3EE,"axG",@progbits,_ZL12snake_kernelI6__halfEvPKT_PKfS5_PS1_i15HIP_vector_typeIjLj3EE,comdat
.Lfunc_end1:
	.size	_ZL12snake_kernelI6__halfEvPKT_PKfS5_PS1_i15HIP_vector_typeIjLj3EE, .Lfunc_end1-_ZL12snake_kernelI6__halfEvPKT_PKfS5_PS1_i15HIP_vector_typeIjLj3EE
                                        ; -- End function
	.set _ZL12snake_kernelI6__halfEvPKT_PKfS5_PS1_i15HIP_vector_typeIjLj3EE.num_vgpr, 24
	.set _ZL12snake_kernelI6__halfEvPKT_PKfS5_PS1_i15HIP_vector_typeIjLj3EE.num_agpr, 0
	.set _ZL12snake_kernelI6__halfEvPKT_PKfS5_PS1_i15HIP_vector_typeIjLj3EE.numbered_sgpr, 8
	.set _ZL12snake_kernelI6__halfEvPKT_PKfS5_PS1_i15HIP_vector_typeIjLj3EE.num_named_barrier, 0
	.set _ZL12snake_kernelI6__halfEvPKT_PKfS5_PS1_i15HIP_vector_typeIjLj3EE.private_seg_size, 0
	.set _ZL12snake_kernelI6__halfEvPKT_PKfS5_PS1_i15HIP_vector_typeIjLj3EE.uses_vcc, 1
	.set _ZL12snake_kernelI6__halfEvPKT_PKfS5_PS1_i15HIP_vector_typeIjLj3EE.uses_flat_scratch, 0
	.set _ZL12snake_kernelI6__halfEvPKT_PKfS5_PS1_i15HIP_vector_typeIjLj3EE.has_dyn_sized_stack, 0
	.set _ZL12snake_kernelI6__halfEvPKT_PKfS5_PS1_i15HIP_vector_typeIjLj3EE.has_recursion, 0
	.set _ZL12snake_kernelI6__halfEvPKT_PKfS5_PS1_i15HIP_vector_typeIjLj3EE.has_indirect_call, 0
	.section	.AMDGPU.csdata,"",@progbits
; Kernel info:
; codeLenInByte = 1260
; TotalNumSgprs: 10
; NumVgprs: 24
; ScratchSize: 0
; MemoryBound: 0
; FloatMode: 240
; IeeeMode: 1
; LDSByteSize: 0 bytes/workgroup (compile time only)
; SGPRBlocks: 0
; VGPRBlocks: 1
; NumSGPRsForWavesPerEU: 10
; NumVGPRsForWavesPerEU: 24
; NamedBarCnt: 0
; Occupancy: 16
; WaveLimiterHint : 0
; COMPUTE_PGM_RSRC2:SCRATCH_EN: 0
; COMPUTE_PGM_RSRC2:USER_SGPR: 2
; COMPUTE_PGM_RSRC2:TRAP_HANDLER: 0
; COMPUTE_PGM_RSRC2:TGID_X_EN: 1
; COMPUTE_PGM_RSRC2:TGID_Y_EN: 0
; COMPUTE_PGM_RSRC2:TGID_Z_EN: 0
; COMPUTE_PGM_RSRC2:TIDIG_COMP_CNT: 0
	.section	.text._ZL12snake_kernelI14__hip_bfloat16EvPKT_PKfS5_PS1_i15HIP_vector_typeIjLj3EE,"axG",@progbits,_ZL12snake_kernelI14__hip_bfloat16EvPKT_PKfS5_PS1_i15HIP_vector_typeIjLj3EE,comdat
	.globl	_ZL12snake_kernelI14__hip_bfloat16EvPKT_PKfS5_PS1_i15HIP_vector_typeIjLj3EE ; -- Begin function _ZL12snake_kernelI14__hip_bfloat16EvPKT_PKfS5_PS1_i15HIP_vector_typeIjLj3EE
	.p2align	8
	.type	_ZL12snake_kernelI14__hip_bfloat16EvPKT_PKfS5_PS1_i15HIP_vector_typeIjLj3EE,@function
_ZL12snake_kernelI14__hip_bfloat16EvPKT_PKfS5_PS1_i15HIP_vector_typeIjLj3EE: ; @_ZL12snake_kernelI14__hip_bfloat16EvPKT_PKfS5_PS1_i15HIP_vector_typeIjLj3EE
; %bb.0:
	s_clause 0x1
	s_load_b32 s2, s[0:1], 0x3c
	s_load_b32 s3, s[0:1], 0x20
	s_bfe_u32 s4, ttmp6, 0x4000c
	s_and_b32 s5, ttmp6, 15
	s_add_co_i32 s4, s4, 1
	s_getreg_b32 s6, hwreg(HW_REG_IB_STS2, 6, 4)
	s_mul_i32 s4, ttmp9, s4
	s_delay_alu instid0(SALU_CYCLE_1) | instskip(SKIP_4) | instid1(SALU_CYCLE_1)
	s_add_co_i32 s5, s5, s4
	s_wait_kmcnt 0x0
	s_and_b32 s2, s2, 0xffff
	s_cmp_eq_u32 s6, 0
	s_cselect_b32 s4, ttmp9, s5
	v_mad_u32 v0, s4, s2, v0
	s_mov_b32 s2, exec_lo
	s_delay_alu instid0(VALU_DEP_1)
	v_cmpx_gt_i32_e64 s3, v0
	s_cbranch_execz .LBB2_6
; %bb.1:
	s_clause 0x1
	s_load_b64 s[2:3], s[0:1], 0x24
	s_load_b128 s[4:7], s[0:1], 0x0
                                        ; implicit-def: $vgpr8
                                        ; implicit-def: $vgpr7
	s_wait_kmcnt 0x0
	v_mul_hi_u32 v1, s2, v0
	global_load_u16 v3, v0, s[4:5] scale_offset
	s_wait_loadcnt 0x0
	v_dual_add_nc_u32 v1, v0, v1 :: v_dual_lshlrev_b32 v4, 16, v3
	s_delay_alu instid0(VALU_DEP_1)
	v_lshrrev_b32_e32 v2, s3, v1
	s_mov_b32 s3, exec_lo
	global_load_b32 v1, v2, s[6:7] scale_offset
	s_wait_loadcnt 0x0
	v_mul_f32_e32 v5, v1, v4
	v_dual_ashrrev_i32 v1, 31, v0 :: v_dual_ashrrev_i32 v3, 31, v2
	s_delay_alu instid0(VALU_DEP_2)
	v_and_b32_e32 v6, 0x7fffffff, v5
	v_cmpx_ngt_f32_e64 0x48000000, |v5|
	s_xor_b32 s4, exec_lo, s3
	s_cbranch_execz .LBB2_3
; %bb.2:
	s_mov_b32 s2, 0x7fffff
	v_mov_b32_e32 v9, 0
	v_and_or_b32 v8, v6, s2, 0x800000
	s_mov_b64 s[2:3], 0xfe5163ab
	v_lshrrev_b32_e32 v7, 23, v6
	s_delay_alu instid0(VALU_DEP_2) | instskip(NEXT) | instid1(VALU_DEP_1)
	v_mul_u64_e32 v[10:11], s[2:3], v[8:9]
	v_dual_mov_b32 v12, v11 :: v_dual_mov_b32 v13, v9
	v_dual_mov_b32 v15, v9 :: v_dual_mov_b32 v17, v9
	;; [unrolled: 1-line block ×3, first 2 shown]
	s_delay_alu instid0(VALU_DEP_3) | instskip(NEXT) | instid1(VALU_DEP_1)
	v_mad_nc_u64_u32 v[12:13], 0x3c439041, v8, v[12:13]
	v_mov_b32_e32 v14, v13
	s_delay_alu instid0(VALU_DEP_1) | instskip(NEXT) | instid1(VALU_DEP_1)
	v_mad_nc_u64_u32 v[14:15], 0xdb629599, v8, v[14:15]
	v_mov_b32_e32 v16, v15
	s_delay_alu instid0(VALU_DEP_1) | instskip(NEXT) | instid1(VALU_DEP_1)
	;; [unrolled: 3-line block ×3, first 2 shown]
	v_mad_nc_u64_u32 v[18:19], 0xfc2757d1, v8, v[18:19]
	v_dual_mov_b32 v21, v9 :: v_dual_mov_b32 v20, v19
	s_delay_alu instid0(VALU_DEP_1) | instskip(NEXT) | instid1(VALU_DEP_1)
	v_mad_nc_u64_u32 v[20:21], 0x4e441529, v8, v[20:21]
	v_dual_mov_b32 v22, v21 :: v_dual_add_nc_u32 v7, 0xffffff88, v7
	s_delay_alu instid0(VALU_DEP_1) | instskip(NEXT) | instid1(VALU_DEP_2)
	v_cmp_lt_u32_e32 vcc_lo, 63, v7
	v_mad_nc_u64_u32 v[8:9], 0xa2f9836e, v8, v[22:23]
	v_cndmask_b32_e64 v11, 0, 0xffffffc0, vcc_lo
	v_dual_cndmask_b32 v13, v20, v16 :: v_dual_cndmask_b32 v10, v14, v10
	s_delay_alu instid0(VALU_DEP_2) | instskip(NEXT) | instid1(VALU_DEP_1)
	v_add_nc_u32_e32 v7, v11, v7
	v_cmp_lt_u32_e64 s2, 31, v7
	v_dual_cndmask_b32 v8, v8, v18 :: v_dual_cndmask_b32 v9, v9, v20
	s_delay_alu instid0(VALU_DEP_2) | instskip(NEXT) | instid1(VALU_DEP_1)
	v_cndmask_b32_e64 v11, 0, 0xffffffe0, s2
	v_add_nc_u32_e32 v7, v11, v7
	s_delay_alu instid0(VALU_DEP_1) | instskip(NEXT) | instid1(VALU_DEP_1)
	v_cmp_lt_u32_e64 s3, 31, v7
	v_cndmask_b32_e64 v11, 0, 0xffffffe0, s3
	s_delay_alu instid0(VALU_DEP_1) | instskip(SKIP_2) | instid1(VALU_DEP_3)
	v_dual_cndmask_b32 v15, v18, v14, vcc_lo :: v_dual_add_nc_u32 v7, v11, v7
	v_cndmask_b32_e32 v11, v16, v12, vcc_lo
	v_dual_cndmask_b32 v12, v8, v13, s2 :: v_dual_cndmask_b32 v8, v9, v8, s2
	v_cndmask_b32_e64 v9, v13, v15, s2
	s_delay_alu instid0(VALU_DEP_4) | instskip(NEXT) | instid1(VALU_DEP_4)
	v_sub_nc_u32_e32 v13, 32, v7
	v_cndmask_b32_e64 v15, v15, v11, s2
	v_cmp_eq_u32_e32 vcc_lo, 0, v7
	v_cndmask_b32_e64 v8, v8, v12, s3
	s_delay_alu instid0(VALU_DEP_3) | instskip(NEXT) | instid1(VALU_DEP_1)
	v_dual_cndmask_b32 v12, v12, v9, s3 :: v_dual_cndmask_b32 v9, v9, v15, s3
	v_alignbit_b32 v16, v8, v12, v13
	s_delay_alu instid0(VALU_DEP_2) | instskip(NEXT) | instid1(VALU_DEP_2)
	v_alignbit_b32 v14, v12, v9, v13
	v_dual_cndmask_b32 v7, v16, v8, vcc_lo :: v_dual_cndmask_b32 v8, v11, v10, s2
	s_delay_alu instid0(VALU_DEP_1) | instskip(NEXT) | instid1(VALU_DEP_1)
	v_bfe_u32 v11, v7, 29, 1
	v_dual_cndmask_b32 v10, v14, v12, vcc_lo :: v_dual_sub_nc_u32 v14, 0, v11
	s_delay_alu instid0(VALU_DEP_1) | instskip(NEXT) | instid1(VALU_DEP_1)
	v_alignbit_b32 v12, v7, v10, 30
	v_dual_cndmask_b32 v8, v15, v8, s3 :: v_dual_bitop2_b32 v12, v12, v14 bitop3:0x14
	s_delay_alu instid0(VALU_DEP_1) | instskip(NEXT) | instid1(VALU_DEP_1)
	v_alignbit_b32 v13, v9, v8, v13
	v_cndmask_b32_e32 v9, v13, v9, vcc_lo
	s_delay_alu instid0(VALU_DEP_3) | instskip(NEXT) | instid1(VALU_DEP_2)
	v_clz_i32_u32_e32 v13, v12
	v_alignbit_b32 v8, v9, v8, 30
	s_delay_alu instid0(VALU_DEP_2) | instskip(NEXT) | instid1(VALU_DEP_2)
	v_min_u32_e32 v13, 32, v13
	v_xor_b32_e32 v8, v8, v14
	v_alignbit_b32 v10, v10, v9, 30
	s_delay_alu instid0(VALU_DEP_1) | instskip(SKIP_1) | instid1(VALU_DEP_1)
	v_dual_lshlrev_b32 v15, 23, v13 :: v_dual_bitop2_b32 v9, v10, v14 bitop3:0x14
	v_dual_sub_nc_u32 v10, 31, v13 :: v_dual_lshrrev_b32 v14, 29, v7
	v_alignbit_b32 v12, v12, v9, v10
	v_alignbit_b32 v8, v9, v8, v10
	s_delay_alu instid0(VALU_DEP_3) | instskip(NEXT) | instid1(VALU_DEP_2)
	v_lshlrev_b32_e32 v9, 31, v14
	v_alignbit_b32 v10, v12, v8, 9
	s_delay_alu instid0(VALU_DEP_2) | instskip(NEXT) | instid1(VALU_DEP_2)
	v_dual_lshrrev_b32 v12, 9, v12 :: v_dual_bitop2_b32 v14, 0.5, v9 bitop3:0x54
	v_clz_i32_u32_e32 v16, v10
	s_delay_alu instid0(VALU_DEP_2) | instskip(SKIP_1) | instid1(VALU_DEP_3)
	v_sub_nc_u32_e32 v14, v14, v15
	v_or_b32_e32 v9, 0x33000000, v9
	v_min_u32_e32 v15, 32, v16
	s_delay_alu instid0(VALU_DEP_1) | instskip(NEXT) | instid1(VALU_DEP_4)
	v_add_lshl_u32 v13, v15, v13, 23
	v_or_b32_e32 v12, v12, v14
	v_not_b32_e32 v14, v15
	s_delay_alu instid0(VALU_DEP_2) | instskip(NEXT) | instid1(VALU_DEP_2)
	v_dual_mul_f32 v16, 0x3fc90fda, v12 :: v_dual_sub_nc_u32 v9, v9, v13
	v_alignbit_b32 v8, v10, v8, v14
	s_delay_alu instid0(VALU_DEP_2) | instskip(NEXT) | instid1(VALU_DEP_2)
	v_fma_f32 v10, 0x3fc90fda, v12, -v16
	v_lshrrev_b32_e32 v8, 9, v8
	s_delay_alu instid0(VALU_DEP_2) | instskip(NEXT) | instid1(VALU_DEP_2)
	v_fmamk_f32 v10, v12, 0x33a22168, v10
	v_or_b32_e32 v8, v9, v8
	s_delay_alu instid0(VALU_DEP_1) | instskip(NEXT) | instid1(VALU_DEP_1)
	v_fmac_f32_e32 v10, 0x3fc90fda, v8
	v_dual_add_f32 v7, v16, v10 :: v_dual_lshrrev_b32 v8, 30, v7
	s_delay_alu instid0(VALU_DEP_1)
	v_add_nc_u32_e32 v8, v11, v8
.LBB2_3:
	s_or_saveexec_b32 s4, s4
	s_load_b128 s[0:3], s[0:1], 0x10
	s_xor_b32 exec_lo, exec_lo, s4
; %bb.4:
	v_mul_f32_e64 v7, 0x3f22f983, |v5|
	s_delay_alu instid0(VALU_DEP_1) | instskip(NEXT) | instid1(VALU_DEP_1)
	v_rndne_f32_e32 v8, v7
	v_fma_f32 v7, 0xbfc90fda, v8, |v5|
	s_delay_alu instid0(VALU_DEP_1) | instskip(NEXT) | instid1(VALU_DEP_1)
	v_fmamk_f32 v7, v8, 0xb3a22168, v7
	v_fmamk_f32 v7, v8, 0xa7c234c4, v7
	v_cvt_i32_f32_e32 v8, v8
; %bb.5:
	s_or_b32 exec_lo, exec_lo, s4
	s_wait_kmcnt 0x0
	v_lshl_add_u64 v[2:3], v[2:3], 2, s[0:1]
	s_mov_b32 s0, 0xb94c1982
	s_mov_b32 s1, 0x37d75334
	v_xor_b32_e32 v6, v6, v5
	v_lshl_add_u64 v[0:1], v[0:1], 1, s[2:3]
	global_load_b32 v2, v[2:3], off
	s_wait_xcnt 0x0
	v_dual_mul_f32 v3, v7, v7 :: v_dual_bitop2_b32 v11, 1, v8 bitop3:0x40
	s_delay_alu instid0(VALU_DEP_1) | instskip(NEXT) | instid1(VALU_DEP_2)
	v_dual_fmaak_f32 v9, s0, v3, 0x3c0881c4 :: v_dual_lshlrev_b32 v8, 30, v8
	v_cmp_eq_u32_e32 vcc_lo, 0, v11
	s_delay_alu instid0(VALU_DEP_2) | instskip(NEXT) | instid1(VALU_DEP_3)
	v_and_b32_e32 v8, 0x80000000, v8
	v_fmaak_f32 v9, v3, v9, 0xbe2aaa9d
	s_delay_alu instid0(VALU_DEP_1) | instskip(NEXT) | instid1(VALU_DEP_1)
	v_dual_fmaak_f32 v10, s1, v3, 0xbab64f3b :: v_dual_mul_f32 v9, v3, v9
	v_fmac_f32_e32 v7, v7, v9
	s_delay_alu instid0(VALU_DEP_2) | instskip(NEXT) | instid1(VALU_DEP_1)
	v_fmaak_f32 v10, v3, v10, 0x3d2aabf7
	v_fmaak_f32 v10, v3, v10, 0xbf000004
	s_delay_alu instid0(VALU_DEP_1) | instskip(NEXT) | instid1(VALU_DEP_1)
	v_fma_f32 v3, v3, v10, 1.0
	v_cndmask_b32_e32 v3, v3, v7, vcc_lo
	v_cmp_class_f32_e64 vcc_lo, v5, 0x1f8
	s_delay_alu instid0(VALU_DEP_2) | instskip(NEXT) | instid1(VALU_DEP_1)
	v_xor3_b32 v3, v6, v8, v3
	v_cndmask_b32_e32 v3, 0x7fc00000, v3, vcc_lo
	s_delay_alu instid0(VALU_DEP_1) | instskip(SKIP_1) | instid1(VALU_DEP_1)
	v_mul_f32_e32 v3, v3, v3
	s_wait_loadcnt 0x0
	v_fma_mixlo_bf16 v2, v2, v3, v4
	global_store_b16 v[0:1], v2, off
.LBB2_6:
	s_endpgm
	.section	.rodata,"a",@progbits
	.p2align	6, 0x0
	.amdhsa_kernel _ZL12snake_kernelI14__hip_bfloat16EvPKT_PKfS5_PS1_i15HIP_vector_typeIjLj3EE
		.amdhsa_group_segment_fixed_size 0
		.amdhsa_private_segment_fixed_size 0
		.amdhsa_kernarg_size 304
		.amdhsa_user_sgpr_count 2
		.amdhsa_user_sgpr_dispatch_ptr 0
		.amdhsa_user_sgpr_queue_ptr 0
		.amdhsa_user_sgpr_kernarg_segment_ptr 1
		.amdhsa_user_sgpr_dispatch_id 0
		.amdhsa_user_sgpr_kernarg_preload_length 0
		.amdhsa_user_sgpr_kernarg_preload_offset 0
		.amdhsa_user_sgpr_private_segment_size 0
		.amdhsa_wavefront_size32 1
		.amdhsa_uses_dynamic_stack 0
		.amdhsa_enable_private_segment 0
		.amdhsa_system_sgpr_workgroup_id_x 1
		.amdhsa_system_sgpr_workgroup_id_y 0
		.amdhsa_system_sgpr_workgroup_id_z 0
		.amdhsa_system_sgpr_workgroup_info 0
		.amdhsa_system_vgpr_workitem_id 0
		.amdhsa_next_free_vgpr 24
		.amdhsa_next_free_sgpr 8
		.amdhsa_named_barrier_count 0
		.amdhsa_reserve_vcc 1
		.amdhsa_float_round_mode_32 0
		.amdhsa_float_round_mode_16_64 0
		.amdhsa_float_denorm_mode_32 3
		.amdhsa_float_denorm_mode_16_64 3
		.amdhsa_fp16_overflow 0
		.amdhsa_memory_ordered 1
		.amdhsa_forward_progress 1
		.amdhsa_inst_pref_size 10
		.amdhsa_round_robin_scheduling 0
		.amdhsa_exception_fp_ieee_invalid_op 0
		.amdhsa_exception_fp_denorm_src 0
		.amdhsa_exception_fp_ieee_div_zero 0
		.amdhsa_exception_fp_ieee_overflow 0
		.amdhsa_exception_fp_ieee_underflow 0
		.amdhsa_exception_fp_ieee_inexact 0
		.amdhsa_exception_int_div_zero 0
	.end_amdhsa_kernel
	.section	.text._ZL12snake_kernelI14__hip_bfloat16EvPKT_PKfS5_PS1_i15HIP_vector_typeIjLj3EE,"axG",@progbits,_ZL12snake_kernelI14__hip_bfloat16EvPKT_PKfS5_PS1_i15HIP_vector_typeIjLj3EE,comdat
.Lfunc_end2:
	.size	_ZL12snake_kernelI14__hip_bfloat16EvPKT_PKfS5_PS1_i15HIP_vector_typeIjLj3EE, .Lfunc_end2-_ZL12snake_kernelI14__hip_bfloat16EvPKT_PKfS5_PS1_i15HIP_vector_typeIjLj3EE
                                        ; -- End function
	.set _ZL12snake_kernelI14__hip_bfloat16EvPKT_PKfS5_PS1_i15HIP_vector_typeIjLj3EE.num_vgpr, 24
	.set _ZL12snake_kernelI14__hip_bfloat16EvPKT_PKfS5_PS1_i15HIP_vector_typeIjLj3EE.num_agpr, 0
	.set _ZL12snake_kernelI14__hip_bfloat16EvPKT_PKfS5_PS1_i15HIP_vector_typeIjLj3EE.numbered_sgpr, 8
	.set _ZL12snake_kernelI14__hip_bfloat16EvPKT_PKfS5_PS1_i15HIP_vector_typeIjLj3EE.num_named_barrier, 0
	.set _ZL12snake_kernelI14__hip_bfloat16EvPKT_PKfS5_PS1_i15HIP_vector_typeIjLj3EE.private_seg_size, 0
	.set _ZL12snake_kernelI14__hip_bfloat16EvPKT_PKfS5_PS1_i15HIP_vector_typeIjLj3EE.uses_vcc, 1
	.set _ZL12snake_kernelI14__hip_bfloat16EvPKT_PKfS5_PS1_i15HIP_vector_typeIjLj3EE.uses_flat_scratch, 0
	.set _ZL12snake_kernelI14__hip_bfloat16EvPKT_PKfS5_PS1_i15HIP_vector_typeIjLj3EE.has_dyn_sized_stack, 0
	.set _ZL12snake_kernelI14__hip_bfloat16EvPKT_PKfS5_PS1_i15HIP_vector_typeIjLj3EE.has_recursion, 0
	.set _ZL12snake_kernelI14__hip_bfloat16EvPKT_PKfS5_PS1_i15HIP_vector_typeIjLj3EE.has_indirect_call, 0
	.section	.AMDGPU.csdata,"",@progbits
; Kernel info:
; codeLenInByte = 1264
; TotalNumSgprs: 10
; NumVgprs: 24
; ScratchSize: 0
; MemoryBound: 0
; FloatMode: 240
; IeeeMode: 1
; LDSByteSize: 0 bytes/workgroup (compile time only)
; SGPRBlocks: 0
; VGPRBlocks: 1
; NumSGPRsForWavesPerEU: 10
; NumVGPRsForWavesPerEU: 24
; NamedBarCnt: 0
; Occupancy: 16
; WaveLimiterHint : 0
; COMPUTE_PGM_RSRC2:SCRATCH_EN: 0
; COMPUTE_PGM_RSRC2:USER_SGPR: 2
; COMPUTE_PGM_RSRC2:TRAP_HANDLER: 0
; COMPUTE_PGM_RSRC2:TGID_X_EN: 1
; COMPUTE_PGM_RSRC2:TGID_Y_EN: 0
; COMPUTE_PGM_RSRC2:TGID_Z_EN: 0
; COMPUTE_PGM_RSRC2:TIDIG_COMP_CNT: 0
	.section	.AMDGPU.gpr_maximums,"",@progbits
	.set amdgpu.max_num_vgpr, 0
	.set amdgpu.max_num_agpr, 0
	.set amdgpu.max_num_sgpr, 0
	.section	.AMDGPU.csdata,"",@progbits
	.type	__hip_cuid_821747470a997ddc,@object ; @__hip_cuid_821747470a997ddc
	.section	.bss,"aw",@nobits
	.globl	__hip_cuid_821747470a997ddc
__hip_cuid_821747470a997ddc:
	.byte	0                               ; 0x0
	.size	__hip_cuid_821747470a997ddc, 1

	.ident	"AMD clang version 22.0.0git (https://github.com/RadeonOpenCompute/llvm-project roc-7.2.4 26084 f58b06dce1f9c15707c5f808fd002e18c2accf7e)"
	.section	".note.GNU-stack","",@progbits
	.addrsig
	.addrsig_sym __hip_cuid_821747470a997ddc
	.amdgpu_metadata
---
amdhsa.kernels:
  - .args:
      - .actual_access:  read_only
        .address_space:  global
        .offset:         0
        .size:           8
        .value_kind:     global_buffer
      - .actual_access:  read_only
        .address_space:  global
        .offset:         8
        .size:           8
        .value_kind:     global_buffer
      - .actual_access:  read_only
        .address_space:  global
        .offset:         16
        .size:           8
        .value_kind:     global_buffer
      - .actual_access:  write_only
        .address_space:  global
        .offset:         24
        .size:           8
        .value_kind:     global_buffer
      - .offset:         32
        .size:           4
        .value_kind:     by_value
      - .offset:         36
        .size:           12
        .value_kind:     by_value
      - .offset:         48
        .size:           4
        .value_kind:     hidden_block_count_x
      - .offset:         52
        .size:           4
        .value_kind:     hidden_block_count_y
      - .offset:         56
        .size:           4
        .value_kind:     hidden_block_count_z
      - .offset:         60
        .size:           2
        .value_kind:     hidden_group_size_x
      - .offset:         62
        .size:           2
        .value_kind:     hidden_group_size_y
      - .offset:         64
        .size:           2
        .value_kind:     hidden_group_size_z
      - .offset:         66
        .size:           2
        .value_kind:     hidden_remainder_x
      - .offset:         68
        .size:           2
        .value_kind:     hidden_remainder_y
      - .offset:         70
        .size:           2
        .value_kind:     hidden_remainder_z
      - .offset:         88
        .size:           8
        .value_kind:     hidden_global_offset_x
      - .offset:         96
        .size:           8
        .value_kind:     hidden_global_offset_y
      - .offset:         104
        .size:           8
        .value_kind:     hidden_global_offset_z
      - .offset:         112
        .size:           2
        .value_kind:     hidden_grid_dims
    .group_segment_fixed_size: 0
    .kernarg_segment_align: 8
    .kernarg_segment_size: 304
    .language:       OpenCL C
    .language_version:
      - 2
      - 0
    .max_flat_workgroup_size: 1024
    .name:           _ZL12snake_kernelIfEvPKT_PKfS4_PS0_i15HIP_vector_typeIjLj3EE
    .private_segment_fixed_size: 0
    .sgpr_count:     10
    .sgpr_spill_count: 0
    .symbol:         _ZL12snake_kernelIfEvPKT_PKfS4_PS0_i15HIP_vector_typeIjLj3EE.kd
    .uniform_work_group_size: 1
    .uses_dynamic_stack: false
    .vgpr_count:     24
    .vgpr_spill_count: 0
    .wavefront_size: 32
  - .args:
      - .actual_access:  read_only
        .address_space:  global
        .offset:         0
        .size:           8
        .value_kind:     global_buffer
      - .actual_access:  read_only
        .address_space:  global
        .offset:         8
        .size:           8
        .value_kind:     global_buffer
      - .actual_access:  read_only
        .address_space:  global
        .offset:         16
        .size:           8
        .value_kind:     global_buffer
      - .actual_access:  write_only
        .address_space:  global
        .offset:         24
        .size:           8
        .value_kind:     global_buffer
      - .offset:         32
        .size:           4
        .value_kind:     by_value
      - .offset:         36
        .size:           12
        .value_kind:     by_value
      - .offset:         48
        .size:           4
        .value_kind:     hidden_block_count_x
      - .offset:         52
        .size:           4
        .value_kind:     hidden_block_count_y
      - .offset:         56
        .size:           4
        .value_kind:     hidden_block_count_z
      - .offset:         60
        .size:           2
        .value_kind:     hidden_group_size_x
      - .offset:         62
        .size:           2
        .value_kind:     hidden_group_size_y
      - .offset:         64
        .size:           2
        .value_kind:     hidden_group_size_z
      - .offset:         66
        .size:           2
        .value_kind:     hidden_remainder_x
      - .offset:         68
        .size:           2
        .value_kind:     hidden_remainder_y
      - .offset:         70
        .size:           2
        .value_kind:     hidden_remainder_z
      - .offset:         88
        .size:           8
        .value_kind:     hidden_global_offset_x
      - .offset:         96
        .size:           8
        .value_kind:     hidden_global_offset_y
      - .offset:         104
        .size:           8
        .value_kind:     hidden_global_offset_z
      - .offset:         112
        .size:           2
        .value_kind:     hidden_grid_dims
    .group_segment_fixed_size: 0
    .kernarg_segment_align: 8
    .kernarg_segment_size: 304
    .language:       OpenCL C
    .language_version:
      - 2
      - 0
    .max_flat_workgroup_size: 1024
    .name:           _ZL12snake_kernelI6__halfEvPKT_PKfS5_PS1_i15HIP_vector_typeIjLj3EE
    .private_segment_fixed_size: 0
    .sgpr_count:     10
    .sgpr_spill_count: 0
    .symbol:         _ZL12snake_kernelI6__halfEvPKT_PKfS5_PS1_i15HIP_vector_typeIjLj3EE.kd
    .uniform_work_group_size: 1
    .uses_dynamic_stack: false
    .vgpr_count:     24
    .vgpr_spill_count: 0
    .wavefront_size: 32
  - .args:
      - .actual_access:  read_only
        .address_space:  global
        .offset:         0
        .size:           8
        .value_kind:     global_buffer
      - .actual_access:  read_only
        .address_space:  global
        .offset:         8
        .size:           8
        .value_kind:     global_buffer
      - .actual_access:  read_only
        .address_space:  global
        .offset:         16
        .size:           8
        .value_kind:     global_buffer
      - .actual_access:  write_only
        .address_space:  global
        .offset:         24
        .size:           8
        .value_kind:     global_buffer
      - .offset:         32
        .size:           4
        .value_kind:     by_value
      - .offset:         36
        .size:           12
        .value_kind:     by_value
      - .offset:         48
        .size:           4
        .value_kind:     hidden_block_count_x
      - .offset:         52
        .size:           4
        .value_kind:     hidden_block_count_y
      - .offset:         56
        .size:           4
        .value_kind:     hidden_block_count_z
      - .offset:         60
        .size:           2
        .value_kind:     hidden_group_size_x
      - .offset:         62
        .size:           2
        .value_kind:     hidden_group_size_y
      - .offset:         64
        .size:           2
        .value_kind:     hidden_group_size_z
      - .offset:         66
        .size:           2
        .value_kind:     hidden_remainder_x
      - .offset:         68
        .size:           2
        .value_kind:     hidden_remainder_y
      - .offset:         70
        .size:           2
        .value_kind:     hidden_remainder_z
      - .offset:         88
        .size:           8
        .value_kind:     hidden_global_offset_x
      - .offset:         96
        .size:           8
        .value_kind:     hidden_global_offset_y
      - .offset:         104
        .size:           8
        .value_kind:     hidden_global_offset_z
      - .offset:         112
        .size:           2
        .value_kind:     hidden_grid_dims
    .group_segment_fixed_size: 0
    .kernarg_segment_align: 8
    .kernarg_segment_size: 304
    .language:       OpenCL C
    .language_version:
      - 2
      - 0
    .max_flat_workgroup_size: 1024
    .name:           _ZL12snake_kernelI14__hip_bfloat16EvPKT_PKfS5_PS1_i15HIP_vector_typeIjLj3EE
    .private_segment_fixed_size: 0
    .sgpr_count:     10
    .sgpr_spill_count: 0
    .symbol:         _ZL12snake_kernelI14__hip_bfloat16EvPKT_PKfS5_PS1_i15HIP_vector_typeIjLj3EE.kd
    .uniform_work_group_size: 1
    .uses_dynamic_stack: false
    .vgpr_count:     24
    .vgpr_spill_count: 0
    .wavefront_size: 32
amdhsa.target:   amdgcn-amd-amdhsa--gfx1250
amdhsa.version:
  - 1
  - 2
...

	.end_amdgpu_metadata
